;; amdgpu-corpus repo=ROCm/rocFFT kind=compiled arch=gfx906 opt=O3
	.text
	.amdgcn_target "amdgcn-amd-amdhsa--gfx906"
	.amdhsa_code_object_version 6
	.protected	fft_rtc_fwd_len50_factors_10_5_wgs_50_tpt_5_sp_op_CI_CI_sbrc_erc_z_xy_unaligned ; -- Begin function fft_rtc_fwd_len50_factors_10_5_wgs_50_tpt_5_sp_op_CI_CI_sbrc_erc_z_xy_unaligned
	.globl	fft_rtc_fwd_len50_factors_10_5_wgs_50_tpt_5_sp_op_CI_CI_sbrc_erc_z_xy_unaligned
	.p2align	8
	.type	fft_rtc_fwd_len50_factors_10_5_wgs_50_tpt_5_sp_op_CI_CI_sbrc_erc_z_xy_unaligned,@function
fft_rtc_fwd_len50_factors_10_5_wgs_50_tpt_5_sp_op_CI_CI_sbrc_erc_z_xy_unaligned: ; @fft_rtc_fwd_len50_factors_10_5_wgs_50_tpt_5_sp_op_CI_CI_sbrc_erc_z_xy_unaligned
; %bb.0:
	s_load_dwordx8 s[8:15], s[4:5], 0x0
	s_waitcnt lgkmcnt(0)
	s_load_dwordx4 s[0:3], s[12:13], 0x8
	s_load_dwordx2 s[24:25], s[4:5], 0x20
	s_load_dwordx4 s[16:19], s[14:15], 0x0
	s_load_dword s7, s[14:15], 0x10
	s_waitcnt lgkmcnt(0)
	s_add_i32 s1, s0, -1
	s_mul_hi_u32 s1, s1, 0xcccccccd
	s_lshr_b32 s1, s1, 3
	s_add_i32 s3, s1, 1
	s_mul_i32 s2, s3, s2
	v_cvt_f32_u32_e32 v2, s2
	v_cvt_f32_u32_e32 v1, s3
	s_sub_i32 s12, 0, s2
	v_rcp_iflag_f32_e32 v2, v2
	v_rcp_iflag_f32_e32 v1, v1
	v_mul_f32_e32 v2, 0x4f7ffffe, v2
	v_cvt_u32_f32_e32 v2, v2
	v_mul_f32_e32 v1, 0x4f7ffffe, v1
	v_cvt_u32_f32_e32 v1, v1
	v_readfirstlane_b32 s19, v2
	s_mul_i32 s12, s12, s19
	s_mul_hi_u32 s12, s19, s12
	s_add_i32 s19, s19, s12
	s_mul_hi_u32 s12, s6, s19
	s_mul_i32 s19, s12, s2
	s_sub_i32 s19, s6, s19
	s_add_i32 s20, s12, 1
	s_sub_i32 s21, s19, s2
	s_cmp_ge_u32 s19, s2
	s_cselect_b32 s12, s20, s12
	s_cselect_b32 s19, s21, s19
	s_add_i32 s20, s12, 1
	s_cmp_ge_u32 s19, s2
	v_readfirstlane_b32 s13, v1
	s_cselect_b32 s19, s20, s12
	s_not_b32 s1, s1
	s_mul_i32 s1, s1, s13
	s_mul_i32 s2, s19, s2
	s_mul_hi_u32 s1, s13, s1
	s_sub_i32 s2, s6, s2
	s_add_i32 s13, s13, s1
	s_mul_hi_u32 s1, s2, s13
	s_mul_i32 s12, s1, s3
	s_sub_i32 s2, s2, s12
	s_add_i32 s20, s1, 1
	s_sub_i32 s12, s2, s3
	s_cmp_ge_u32 s2, s3
	s_cselect_b32 s1, s20, s1
	s_cselect_b32 s2, s12, s2
	s_add_i32 s12, s1, 1
	s_cmp_ge_u32 s2, s3
	s_cselect_b32 s26, s12, s1
	s_mul_hi_u32 s1, s6, s13
	s_mul_i32 s1, s1, s3
	s_sub_i32 s1, s6, s1
	s_sub_i32 s2, s1, s3
	s_cmp_ge_u32 s1, s3
	s_cselect_b32 s1, s2, s1
	s_sub_i32 s2, s1, s3
	s_cmp_ge_u32 s1, s3
	s_cselect_b32 s1, s2, s1
	s_mul_i32 s1, s1, 10
	s_mul_i32 s2, s26, s7
	;; [unrolled: 1-line block ×3, first 2 shown]
	s_add_i32 s27, s3, s2
	s_lshl_b64 s[6:7], s[10:11], 3
	s_add_u32 s10, s14, s6
	s_addc_u32 s11, s15, s7
	s_load_dwordx2 s[22:23], s[10:11], 0x0
	s_load_dwordx2 s[20:21], s[4:5], 0x58
	s_load_dwordx4 s[12:15], s[24:25], 0x0
	s_load_dwordx2 s[2:3], s[24:25], 0x10
	v_mul_u32_u24_e32 v1, 0x51f, v0
	s_waitcnt lgkmcnt(0)
	s_mul_i32 s3, s23, s19
	s_mul_hi_u32 s10, s22, s19
	s_add_i32 s10, s10, s3
	s_mul_i32 s3, s22, s19
	s_add_u32 s22, s3, s27
	s_addc_u32 s23, s10, 0
	s_add_u32 s6, s24, s6
	s_addc_u32 s7, s25, s7
	s_load_dwordx2 s[10:11], s[6:7], 0x0
	s_add_i32 s3, s1, 10
	s_cmp_le_u32 s3, s0
	v_lshrrev_b32_e32 v1, 16, v1
	s_cselect_b64 s[6:7], -1, 0
	v_mul_lo_u16_e32 v2, 50, v1
	v_sub_u16_e32 v2, v0, v2
	s_mov_b64 s[24:25], -1
	s_and_b64 vcc, exec, s[6:7]
	s_cbranch_vccz .LBB0_2
; %bb.1:
	v_mad_u64_u32 v[3:4], s[24:25], s16, v2, 0
	v_mul_lo_u32 v5, s18, v1
	v_mov_b32_e32 v6, 0
	v_mad_u64_u32 v[7:8], s[24:25], s17, v2, v[4:5]
	s_lshl_b64 s[24:25], s[22:23], 3
	s_add_u32 s3, s20, s24
	v_mov_b32_e32 v4, v7
	v_lshlrev_b64 v[3:4], 3, v[3:4]
	s_addc_u32 s15, s21, s25
	v_mov_b32_e32 v7, s15
	v_add_co_u32_e32 v25, vcc, s3, v3
	v_addc_co_u32_e32 v26, vcc, v7, v4, vcc
	v_lshlrev_b64 v[3:4], 3, v[5:6]
	v_add_u32_e32 v5, s18, v5
	v_add_co_u32_e32 v3, vcc, v25, v3
	v_lshlrev_b64 v[7:8], 3, v[5:6]
	v_addc_co_u32_e32 v4, vcc, v26, v4, vcc
	v_add_u32_e32 v5, s18, v5
	v_add_co_u32_e32 v7, vcc, v25, v7
	v_lshlrev_b64 v[9:10], 3, v[5:6]
	v_addc_co_u32_e32 v8, vcc, v26, v8, vcc
	v_add_u32_e32 v5, s18, v5
	v_lshlrev_b64 v[11:12], 3, v[5:6]
	v_add_co_u32_e32 v9, vcc, v25, v9
	v_add_u32_e32 v5, s18, v5
	v_addc_co_u32_e32 v10, vcc, v26, v10, vcc
	v_lshlrev_b64 v[13:14], 3, v[5:6]
	v_add_co_u32_e32 v11, vcc, v25, v11
	v_add_u32_e32 v5, s18, v5
	v_addc_co_u32_e32 v12, vcc, v26, v12, vcc
	v_lshlrev_b64 v[15:16], 3, v[5:6]
	global_load_dwordx2 v[17:18], v[3:4], off
	global_load_dwordx2 v[19:20], v[7:8], off
	;; [unrolled: 1-line block ×4, first 2 shown]
	v_add_co_u32_e32 v7, vcc, v25, v13
	v_add_u32_e32 v5, s18, v5
	v_addc_co_u32_e32 v8, vcc, v26, v14, vcc
	v_lshlrev_b64 v[3:4], 3, v[5:6]
	v_add_co_u32_e32 v9, vcc, v25, v15
	v_add_u32_e32 v5, s18, v5
	v_addc_co_u32_e32 v10, vcc, v26, v16, vcc
	v_add_co_u32_e32 v3, vcc, v25, v3
	v_lshlrev_b64 v[11:12], 3, v[5:6]
	v_addc_co_u32_e32 v4, vcc, v26, v4, vcc
	v_add_u32_e32 v5, s18, v5
	v_add_co_u32_e32 v11, vcc, v25, v11
	v_lshlrev_b64 v[13:14], 3, v[5:6]
	v_addc_co_u32_e32 v12, vcc, v26, v12, vcc
	v_add_u32_e32 v5, s18, v5
	v_add_co_u32_e32 v13, vcc, v25, v13
	v_lshlrev_b64 v[5:6], 3, v[5:6]
	v_addc_co_u32_e32 v14, vcc, v26, v14, vcc
	v_add_co_u32_e32 v5, vcc, v25, v5
	v_addc_co_u32_e32 v6, vcc, v26, v6, vcc
	global_load_dwordx2 v[15:16], v[7:8], off
	global_load_dwordx2 v[25:26], v[9:10], off
	;; [unrolled: 1-line block ×6, first 2 shown]
	v_mul_u32_u24_e32 v3, 0x198, v1
	v_lshlrev_b32_e32 v4, 3, v2
	v_add3_u32 v3, 0, v3, v4
	v_add_u32_e32 v4, 0x800, v3
	s_mov_b64 s[24:25], 0
	s_waitcnt vmcnt(8)
	ds_write2_b64 v3, v[17:18], v[19:20] offset1:51
	s_waitcnt vmcnt(6)
	ds_write2_b64 v3, v[21:22], v[23:24] offset0:102 offset1:153
	s_waitcnt vmcnt(4)
	ds_write2_b64 v3, v[15:16], v[25:26] offset0:204 offset1:255
	;; [unrolled: 2-line block ×4, first 2 shown]
.LBB0_2:
	s_load_dwordx2 s[4:5], s[4:5], 0x60
	s_andn2_b64 vcc, exec, s[24:25]
	s_cbranch_vccnz .LBB0_7
; %bb.3:
	v_add_u32_e32 v3, s1, v1
	v_cmp_gt_u32_e32 vcc, s0, v3
	s_and_saveexec_b64 s[24:25], vcc
	s_cbranch_execz .LBB0_6
; %bb.4:
	v_mad_u64_u32 v[4:5], s[28:29], s16, v2, 0
	s_lshl_b64 s[22:23], s[22:23], 3
	s_add_u32 s3, s20, s22
	v_mad_u64_u32 v[5:6], s[16:17], s17, v2, v[5:6]
	s_addc_u32 s15, s21, s23
	v_mov_b32_e32 v6, s15
	v_lshlrev_b64 v[4:5], 3, v[4:5]
	v_lshlrev_b32_e32 v2, 3, v2
	v_add_co_u32_e32 v4, vcc, s3, v4
	v_addc_co_u32_e32 v5, vcc, v6, v5, vcc
	v_mul_u32_u24_e32 v6, 0x198, v1
	v_mul_lo_u32 v1, v1, s18
	v_add3_u32 v6, v6, v2, 0
	s_mov_b64 s[16:17], 0
	v_mov_b32_e32 v2, 0
.LBB0_5:                                ; =>This Inner Loop Header: Depth=1
	v_lshlrev_b64 v[7:8], 3, v[1:2]
	v_add_u32_e32 v3, 1, v3
	v_add_co_u32_e32 v7, vcc, v4, v7
	v_addc_co_u32_e32 v8, vcc, v5, v8, vcc
	global_load_dwordx2 v[7:8], v[7:8], off
	v_cmp_le_u32_e32 vcc, s0, v3
	v_add_u32_e32 v1, s18, v1
	s_or_b64 s[16:17], vcc, s[16:17]
	s_waitcnt vmcnt(0)
	ds_write_b64 v6, v[7:8]
	v_add_u32_e32 v6, 0x198, v6
	s_andn2_b64 exec, exec, s[16:17]
	s_cbranch_execnz .LBB0_5
.LBB0_6:
	s_or_b64 exec, exec, s[24:25]
.LBB0_7:
	s_movk_i32 s3, 0x3334
	v_mul_u32_u24_sdwa v1, v0, s3 dst_sel:DWORD dst_unused:UNUSED_PAD src0_sel:WORD_0 src1_sel:DWORD
	v_add_u32_sdwa v1, s1, v1 dst_sel:DWORD dst_unused:UNUSED_PAD src0_sel:DWORD src1_sel:WORD_1
	s_mov_b32 s3, 0xcccccccd
	v_mul_hi_u32 v2, v1, s3
	s_mov_b32 s3, 0x33333334
	v_mul_hi_u32 v3, v0, s3
	s_waitcnt lgkmcnt(0)
	v_lshrrev_b32_e32 v2, 3, v2
	v_mul_lo_u32 v4, v2, 10
	v_mul_u32_u24_e32 v2, 5, v3
	v_sub_u32_e32 v2, v0, v2
	v_lshlrev_b32_e32 v22, 3, v2
	v_sub_u32_e32 v1, v1, v4
	v_mul_u32_u24_e32 v1, 51, v1
	v_lshlrev_b32_e32 v21, 3, v1
	v_add3_u32 v1, 0, v22, v21
	; wave barrier
	ds_read2_b64 v[3:6], v1 offset0:25 offset1:30
	ds_read2_b64 v[7:10], v1 offset0:35 offset1:40
	;; [unrolled: 1-line block ×4, first 2 shown]
	ds_read_b64 v[19:20], v1 offset:360
	v_add3_u32 v27, 0, v21, v22
	s_waitcnt lgkmcnt(3)
	v_add_f32_e32 v21, v3, v7
	s_waitcnt lgkmcnt(2)
	v_fma_f32 v23, -0.5, v21, v11
	ds_read_b64 v[21:22], v27
	s_waitcnt lgkmcnt(1)
	v_add_f32_e32 v24, v15, v19
	v_fma_f32 v24, -0.5, v24, v11
	v_add_f32_e32 v25, v4, v8
	v_add_f32_e32 v26, v16, v20
	;; [unrolled: 1-line block ×3, first 2 shown]
	v_fma_f32 v25, -0.5, v25, v12
	v_fma_f32 v26, -0.5, v26, v12
	v_add_f32_e32 v12, v12, v16
	v_add_f32_e32 v11, v11, v3
	s_waitcnt lgkmcnt(0)
	v_add_f32_e32 v28, v21, v13
	v_add_f32_e32 v33, v22, v14
	v_sub_f32_e32 v39, v15, v3
	v_sub_f32_e32 v40, v3, v15
	v_add_f32_e32 v12, v12, v4
	v_sub_f32_e32 v46, v3, v7
	v_add_f32_e32 v3, v11, v7
	v_sub_f32_e32 v29, v14, v10
	v_sub_f32_e32 v34, v14, v18
	v_add_f32_e32 v35, v14, v10
	v_sub_f32_e32 v14, v18, v14
	v_add_f32_e32 v28, v28, v17
	v_add_f32_e32 v33, v33, v18
	v_add_f32_e32 v36, v17, v5
	v_sub_f32_e32 v37, v18, v6
	v_add_f32_e32 v18, v18, v6
	v_sub_f32_e32 v38, v16, v20
	v_sub_f32_e32 v41, v16, v4
	v_sub_f32_e32 v16, v4, v16
	v_sub_f32_e32 v45, v4, v8
	v_add_f32_e32 v4, v12, v8
	v_add_f32_e32 v12, v3, v19
	v_mov_b32_e32 v3, v23
	v_sub_f32_e32 v30, v13, v17
	v_sub_f32_e32 v32, v17, v13
	;; [unrolled: 1-line block ×4, first 2 shown]
	v_add_f32_e32 v28, v28, v5
	v_add_f32_e32 v33, v33, v6
	v_sub_f32_e32 v42, v9, v5
	v_sub_f32_e32 v43, v5, v9
	;; [unrolled: 1-line block ×7, first 2 shown]
	v_add_f32_e32 v19, v4, v20
	v_fmac_f32_e32 v3, 0x3f737871, v38
	v_mov_b32_e32 v4, v25
	v_fma_f32 v36, -0.5, v36, v21
	v_fma_f32 v18, -0.5, v18, v22
	v_add_f32_e32 v31, v13, v9
	v_sub_f32_e32 v13, v13, v9
	v_sub_f32_e32 v8, v8, v20
	v_add_f32_e32 v20, v30, v42
	v_add_f32_e32 v30, v39, v6
	;; [unrolled: 1-line block ×3, first 2 shown]
	v_fmac_f32_e32 v3, 0x3f167918, v45
	v_fmac_f32_e32 v4, 0xbf737871, v15
	v_mov_b32_e32 v39, v36
	v_mov_b32_e32 v41, v18
	v_fmac_f32_e32 v3, 0x3e9e377a, v30
	v_fmac_f32_e32 v4, 0xbf167918, v46
	;; [unrolled: 1-line block ×4, first 2 shown]
	v_add_f32_e32 v9, v28, v9
	v_add_f32_e32 v10, v33, v10
	;; [unrolled: 1-line block ×3, first 2 shown]
	v_fmac_f32_e32 v4, 0x3e9e377a, v11
	v_mul_f32_e32 v33, 0x3f4f1bbd, v3
	v_mul_f32_e32 v34, 0xbf167918, v3
	v_fmac_f32_e32 v39, 0x3f167918, v37
	v_fmac_f32_e32 v41, 0xbf167918, v17
	v_fma_f32 v21, -0.5, v31, v21
	v_fmac_f32_e32 v33, 0x3f167918, v4
	v_fmac_f32_e32 v34, 0x3f4f1bbd, v4
	;; [unrolled: 1-line block ×4, first 2 shown]
	s_movk_i32 s3, 0x48
	v_mov_b32_e32 v31, v21
	v_add_f32_e32 v3, v9, v12
	v_add_f32_e32 v4, v10, v19
	;; [unrolled: 1-line block ×4, first 2 shown]
	v_mad_u32_u24 v42, v2, s3, v1
	v_fmac_f32_e32 v31, 0xbf737871, v37
	v_fmac_f32_e32 v21, 0x3f737871, v37
	s_waitcnt lgkmcnt(0)
	; wave barrier
	ds_write2_b64 v42, v[3:4], v[5:6] offset1:1
	v_add_f32_e32 v3, v32, v43
	v_fmac_f32_e32 v31, 0x3f167918, v29
	v_fmac_f32_e32 v21, 0xbf167918, v29
	v_fmac_f32_e32 v22, -0.5, v35
	v_fmac_f32_e32 v31, 0x3e9e377a, v3
	v_fmac_f32_e32 v21, 0x3e9e377a, v3
	v_add_f32_e32 v3, v14, v44
	v_mov_b32_e32 v14, v22
	v_fmac_f32_e32 v14, 0x3f737871, v17
	v_fmac_f32_e32 v22, 0xbf737871, v17
	v_mov_b32_e32 v4, v24
	v_fmac_f32_e32 v14, 0xbf167918, v13
	v_fmac_f32_e32 v22, 0x3f167918, v13
	;; [unrolled: 1-line block ×4, first 2 shown]
	v_mov_b32_e32 v5, v26
	v_fmac_f32_e32 v14, 0x3e9e377a, v3
	v_fmac_f32_e32 v22, 0x3e9e377a, v3
	v_add_f32_e32 v3, v40, v7
	v_fmac_f32_e32 v4, 0x3f167918, v38
	v_fmac_f32_e32 v24, 0xbf167918, v38
	;; [unrolled: 1-line block ×6, first 2 shown]
	v_add_f32_e32 v3, v16, v8
	v_fmac_f32_e32 v5, 0xbf167918, v15
	v_fmac_f32_e32 v26, 0x3f167918, v15
	;; [unrolled: 1-line block ×4, first 2 shown]
	s_mov_b32 s3, 0x3f737871
	v_mul_f32_e32 v3, 0x3e9e377a, v24
	v_mul_f32_e32 v16, 0x3f737871, v5
	;; [unrolled: 1-line block ×3, first 2 shown]
	s_mov_b32 s15, 0xbf737871
	v_fma_f32 v7, v26, s3, -v3
	v_mul_f32_e32 v3, 0x3e9e377a, v26
	v_fmac_f32_e32 v23, 0xbf737871, v38
	v_fmac_f32_e32 v25, 0x3f737871, v15
	;; [unrolled: 1-line block ×4, first 2 shown]
	v_fma_f32 v8, v24, s15, -v3
	v_fmac_f32_e32 v23, 0xbf167918, v45
	v_fmac_f32_e32 v25, 0x3f167918, v46
	v_add_f32_e32 v3, v31, v16
	v_add_f32_e32 v4, v14, v32
	;; [unrolled: 1-line block ×4, first 2 shown]
	v_fmac_f32_e32 v36, 0xbf737871, v29
	v_fmac_f32_e32 v18, 0x3f737871, v13
	;; [unrolled: 1-line block ×4, first 2 shown]
	ds_write2_b64 v42, v[3:4], v[5:6] offset0:2 offset1:3
	v_sub_f32_e32 v5, v9, v12
	v_fmac_f32_e32 v36, 0xbf167918, v37
	v_fmac_f32_e32 v18, 0x3f167918, v17
	s_mov_b32 s3, 0x3f167918
	s_mov_b32 s15, 0xbf167918
	v_mul_f32_e32 v9, 0x3f4f1bbd, v23
	v_mul_f32_e32 v12, 0x3f4f1bbd, v25
	v_sub_f32_e32 v6, v10, v19
	v_fmac_f32_e32 v36, 0x3e9e377a, v20
	v_fmac_f32_e32 v18, 0x3e9e377a, v28
	v_fma_f32 v13, v25, s3, -v9
	v_sub_f32_e32 v10, v14, v32
	v_fma_f32 v14, v23, s15, -v12
	v_sub_f32_e32 v4, v22, v8
	v_sub_f32_e32 v3, v21, v7
	v_add_f32_e32 v11, v36, v13
	v_add_f32_e32 v12, v18, v14
	v_lshlrev_b32_e32 v19, 5, v2
	v_sub_f32_e32 v7, v39, v33
	v_sub_f32_e32 v8, v41, v34
	;; [unrolled: 1-line block ×5, first 2 shown]
	ds_write2_b64 v42, v[11:12], v[5:6] offset0:4 offset1:5
	ds_write2_b64 v42, v[7:8], v[9:10] offset0:6 offset1:7
	;; [unrolled: 1-line block ×3, first 2 shown]
	s_waitcnt lgkmcnt(0)
	; wave barrier
	s_waitcnt lgkmcnt(0)
	global_load_dwordx4 v[3:6], v19, s[8:9] offset:16
	v_add_u32_e32 v20, 0xa0, v19
	global_load_dwordx4 v[7:10], v20, s[8:9] offset:16
	global_load_dwordx4 v[11:14], v19, s[8:9]
	global_load_dwordx4 v[15:18], v20, s[8:9]
	ds_read2_b64 v[19:22], v1 offset0:30 offset1:35
	ds_read2_b64 v[23:26], v1 offset0:40 offset1:45
	s_movk_i32 s3, 0xffb8
	s_mul_hi_u32 s8, s12, s1
	s_mul_i32 s26, s26, s14
	s_waitcnt vmcnt(3) lgkmcnt(1)
	v_mul_f32_e32 v28, v4, v20
	v_mul_f32_e32 v29, v4, v19
	v_fma_f32 v28, v3, v19, -v28
	v_fmac_f32_e32 v29, v3, v20
	s_waitcnt lgkmcnt(0)
	v_mul_f32_e32 v3, v6, v24
	v_fma_f32 v30, v5, v23, -v3
	v_mul_f32_e32 v23, v6, v23
	s_waitcnt vmcnt(2)
	v_mul_f32_e32 v3, v22, v8
	v_fmac_f32_e32 v23, v5, v24
	v_fma_f32 v24, v21, v7, -v3
	v_mul_f32_e32 v21, v21, v8
	v_fmac_f32_e32 v21, v22, v7
	ds_read_b64 v[7:8], v1 offset:80
	v_mul_f32_e32 v3, v26, v10
	v_fma_f32 v22, v25, v9, -v3
	v_mul_f32_e32 v25, v25, v10
	v_fmac_f32_e32 v25, v26, v9
	ds_read2_b64 v[3:6], v1 offset0:20 offset1:25
	ds_read2_b32 v[9:10], v1 offset0:30 offset1:31
	ds_read_b64 v[19:20], v27
	s_waitcnt vmcnt(1) lgkmcnt(3)
	v_mul_f32_e32 v26, v12, v8
	v_fma_f32 v26, v11, v7, -v26
	v_mul_f32_e32 v7, v12, v7
	v_fmac_f32_e32 v7, v11, v8
	s_waitcnt lgkmcnt(2)
	v_mul_f32_e32 v8, v14, v4
	v_fma_f32 v8, v13, v3, -v8
	v_mul_f32_e32 v11, v14, v3
	s_waitcnt vmcnt(0)
	v_mul_f32_e32 v3, v6, v18
	v_fma_f32 v12, v5, v17, -v3
	s_waitcnt lgkmcnt(1)
	v_mul_f32_e32 v3, v10, v16
	v_mul_f32_e32 v16, v16, v9
	v_fmac_f32_e32 v11, v13, v4
	v_fma_f32 v14, v15, v9, -v3
	v_fmac_f32_e32 v16, v10, v15
	v_mad_i32_i24 v10, v2, s3, v42
	s_waitcnt lgkmcnt(0)
	v_add_f32_e32 v2, v19, v26
	v_add_f32_e32 v3, v20, v7
	;; [unrolled: 1-line block ×8, first 2 shown]
	v_mul_f32_e32 v13, v5, v18
	ds_read_b64 v[4:5], v10 offset:40
	s_waitcnt lgkmcnt(0)
	; wave barrier
	s_waitcnt lgkmcnt(0)
	ds_write_b64 v10, v[2:3]
	v_sub_f32_e32 v2, v26, v8
	v_sub_f32_e32 v3, v30, v28
	v_add_f32_e32 v15, v2, v3
	v_add_f32_e32 v2, v8, v28
	;; [unrolled: 1-line block ×3, first 2 shown]
	v_fmac_f32_e32 v13, v6, v17
	v_fma_f32 v2, -0.5, v2, v19
	v_fma_f32 v19, -0.5, v3, v19
	v_sub_f32_e32 v3, v8, v26
	v_sub_f32_e32 v6, v28, v30
	v_add_f32_e32 v17, v3, v6
	v_sub_f32_e32 v18, v26, v30
	v_sub_f32_e32 v26, v8, v28
	;; [unrolled: 1-line block ×4, first 2 shown]
	v_add_f32_e32 v3, v11, v29
	v_add_f32_e32 v27, v6, v8
	;; [unrolled: 1-line block ×3, first 2 shown]
	v_fma_f32 v3, -0.5, v3, v20
	v_fmac_f32_e32 v20, -0.5, v6
	v_sub_f32_e32 v28, v7, v23
	v_sub_f32_e32 v6, v11, v7
	v_sub_f32_e32 v7, v29, v23
	v_sub_f32_e32 v11, v11, v29
	v_add_f32_e32 v23, v6, v7
	v_mov_b32_e32 v6, v2
	v_mov_b32_e32 v8, v19
	;; [unrolled: 1-line block ×4, first 2 shown]
	v_fmac_f32_e32 v6, 0x3f737871, v28
	v_fmac_f32_e32 v8, 0xbf737871, v11
	;; [unrolled: 1-line block ×12, first 2 shown]
	ds_write2_b64 v1, v[6:7], v[8:9] offset0:10 offset1:20
	v_add_f32_e32 v6, v12, v24
	v_fma_f32 v8, -0.5, v6, v4
	v_sub_f32_e32 v6, v14, v12
	v_sub_f32_e32 v7, v22, v24
	v_fmac_f32_e32 v2, 0xbf737871, v28
	v_add_f32_e32 v6, v6, v7
	v_sub_f32_e32 v7, v16, v25
	v_mov_b32_e32 v9, v8
	v_fmac_f32_e32 v2, 0xbf167918, v11
	v_fmac_f32_e32 v19, 0x3f737871, v11
	;; [unrolled: 1-line block ×3, first 2 shown]
	v_sub_f32_e32 v11, v13, v21
	v_fmac_f32_e32 v8, 0xbf737871, v7
	v_fmac_f32_e32 v9, 0x3f167918, v11
	;; [unrolled: 1-line block ×6, first 2 shown]
	v_sub_f32_e32 v6, v12, v14
	v_sub_f32_e32 v15, v24, v22
	v_add_f32_e32 v6, v6, v15
	v_add_f32_e32 v15, v14, v22
	v_fmac_f32_e32 v19, 0xbf167918, v28
	v_fma_f32 v15, -0.5, v15, v4
	v_fmac_f32_e32 v19, 0x3e9e377a, v17
	v_mov_b32_e32 v17, v15
	v_fmac_f32_e32 v17, 0xbf737871, v11
	v_fmac_f32_e32 v15, 0x3f737871, v11
	;; [unrolled: 1-line block ×4, first 2 shown]
	v_add_f32_e32 v4, v4, v14
	v_fmac_f32_e32 v17, 0x3e9e377a, v6
	v_fmac_f32_e32 v15, 0x3e9e377a, v6
	v_add_f32_e32 v4, v4, v12
	v_add_f32_e32 v6, v5, v16
	;; [unrolled: 1-line block ×6, first 2 shown]
	v_sub_f32_e32 v4, v14, v22
	v_sub_f32_e32 v11, v12, v24
	;; [unrolled: 1-line block ×4, first 2 shown]
	v_add_f32_e32 v12, v12, v14
	v_add_f32_e32 v14, v13, v21
	v_fmac_f32_e32 v20, 0xbf737871, v26
	v_fma_f32 v14, -0.5, v14, v5
	v_fmac_f32_e32 v3, 0x3f737871, v18
	v_fmac_f32_e32 v20, 0x3f167918, v18
	v_mov_b32_e32 v18, v14
	v_fmac_f32_e32 v18, 0xbf737871, v4
	v_fmac_f32_e32 v14, 0x3f737871, v4
	;; [unrolled: 1-line block ×4, first 2 shown]
	s_mul_i32 s3, s13, s1
	v_fmac_f32_e32 v18, 0x3e9e377a, v12
	v_fmac_f32_e32 v14, 0x3e9e377a, v12
	v_add_f32_e32 v12, v16, v25
	s_add_i32 s8, s8, s3
	s_mul_i32 s3, s12, s1
	v_fmac_f32_e32 v5, -0.5, v12
	v_sub_f32_e32 v12, v13, v16
	v_sub_f32_e32 v13, v21, v25
	s_add_u32 s3, s3, s26
	v_add_f32_e32 v12, v12, v13
	v_mov_b32_e32 v13, v5
	s_addc_u32 s9, s8, 0
	s_mul_i32 s8, s11, s19
	s_mul_hi_u32 s11, s10, s19
	v_fmac_f32_e32 v3, 0x3f167918, v26
	v_fmac_f32_e32 v13, 0x3f737871, v11
	;; [unrolled: 1-line block ×3, first 2 shown]
	s_add_i32 s11, s11, s8
	s_mul_i32 s8, s10, s19
	v_fmac_f32_e32 v3, 0x3e9e377a, v27
	v_fmac_f32_e32 v20, 0x3e9e377a, v23
	v_add_f32_e32 v7, v7, v25
	s_add_u32 s8, s3, s8
	v_fmac_f32_e32 v13, 0xbf167918, v4
	v_fmac_f32_e32 v5, 0x3f167918, v4
	s_mov_b32 s3, 0x1999999a
	v_fmac_f32_e32 v13, 0x3e9e377a, v12
	v_fmac_f32_e32 v5, 0x3e9e377a, v12
	ds_write2_b64 v1, v[19:20], v[2:3] offset0:30 offset1:40
	ds_write_b64 v10, v[6:7] offset:40
	ds_write2_b32 v10, v9, v18 offset0:30 offset1:31
	ds_write2_b32 v10, v17, v13 offset0:50 offset1:51
	;; [unrolled: 1-line block ×3, first 2 shown]
	v_mul_hi_u32 v7, v0, s3
	s_addc_u32 s9, s9, s11
	ds_write2_b32 v10, v8, v14 offset0:90 offset1:91
	s_andn2_b64 vcc, exec, s[6:7]
	v_mul_u32_u24_e32 v1, 10, v7
	v_sub_u32_e32 v8, v0, v1
	s_waitcnt lgkmcnt(0)
	; wave barrier
	s_waitcnt lgkmcnt(0)
	s_cbranch_vccnz .LBB0_11
; %bb.8:
	v_mad_u64_u32 v[4:5], s[6:7], s12, v8, 0
	v_mul_lo_u32 v1, v7, s2
	s_mov_b64 s[10:11], 0
	v_mov_b32_e32 v2, v5
	v_mad_u64_u32 v[5:6], s[6:7], s13, v8, v[2:3]
	s_lshl_b64 s[6:7], s[8:9], 3
	v_mul_i32_i24_e32 v3, 0x198, v8
	v_lshlrev_b32_e32 v6, 3, v7
	s_add_u32 s3, s4, s6
	v_lshlrev_b64 v[4:5], 3, v[4:5]
	v_add3_u32 v3, 0, v3, v6
	s_addc_u32 s6, s5, s7
	v_mov_b32_e32 v2, 0
	v_mov_b32_e32 v6, s6
	v_add_co_u32_e32 v9, vcc, s3, v4
	ds_read2_b64 v[11:14], v3 offset1:5
	v_addc_co_u32_e32 v10, vcc, v6, v5, vcc
	v_lshlrev_b64 v[4:5], 3, v[1:2]
	s_mul_i32 s3, s2, 5
	v_add_co_u32_e32 v4, vcc, v9, v4
	v_addc_co_u32_e32 v5, vcc, v10, v5, vcc
	v_add_u32_e32 v1, s3, v1
	s_waitcnt lgkmcnt(0)
	global_store_dwordx2 v[4:5], v[11:12], off
	v_lshlrev_b64 v[4:5], 3, v[1:2]
	v_add_u32_e32 v1, s3, v1
	v_add_co_u32_e32 v4, vcc, v9, v4
	v_addc_co_u32_e32 v5, vcc, v10, v5, vcc
	global_store_dwordx2 v[4:5], v[13:14], off
	ds_read2_b64 v[11:14], v3 offset0:10 offset1:15
	v_lshlrev_b64 v[4:5], 3, v[1:2]
	v_add_u32_e32 v1, s3, v1
	v_add_co_u32_e32 v4, vcc, v9, v4
	v_addc_co_u32_e32 v5, vcc, v10, v5, vcc
	s_waitcnt lgkmcnt(0)
	global_store_dwordx2 v[4:5], v[11:12], off
	v_lshlrev_b64 v[4:5], 3, v[1:2]
	v_add_u32_e32 v1, s3, v1
	v_add_co_u32_e32 v4, vcc, v9, v4
	v_addc_co_u32_e32 v5, vcc, v10, v5, vcc
	global_store_dwordx2 v[4:5], v[13:14], off
	ds_read2_b64 v[11:14], v3 offset0:20 offset1:25
	v_lshlrev_b64 v[4:5], 3, v[1:2]
	v_add_u32_e32 v1, s3, v1
	v_add_co_u32_e32 v4, vcc, v9, v4
	v_addc_co_u32_e32 v5, vcc, v10, v5, vcc
	;; [unrolled: 12-line block ×4, first 2 shown]
	s_waitcnt lgkmcnt(0)
	global_store_dwordx2 v[4:5], v[11:12], off
	v_lshlrev_b64 v[4:5], 3, v[1:2]
	s_mov_b64 s[6:7], 0
	v_add_co_u32_e32 v4, vcc, v9, v4
	v_addc_co_u32_e32 v5, vcc, v10, v5, vcc
	v_cmp_gt_u32_e32 vcc, 10, v0
	global_store_dwordx2 v[4:5], v[13:14], off
                                        ; implicit-def: $vgpr4
                                        ; implicit-def: $vgpr5_vgpr6
	s_and_saveexec_b64 s[14:15], vcc
	s_cbranch_execz .LBB0_10
; %bb.9:
	v_or_b32_e32 v1, 50, v7
	v_mul_lo_u32 v1, v1, s2
	ds_read_b64 v[3:4], v3 offset:400
	s_mov_b64 s[6:7], exec
	v_lshlrev_b64 v[1:2], 3, v[1:2]
	v_add_co_u32_e32 v5, vcc, v9, v1
	v_addc_co_u32_e32 v6, vcc, v10, v2, vcc
	s_waitcnt lgkmcnt(0)
	global_store_dword v[5:6], v3, off
.LBB0_10:
	s_or_b64 exec, exec, s[14:15]
	s_and_b64 vcc, exec, s[10:11]
	s_cbranch_vccnz .LBB0_12
	s_branch .LBB0_17
.LBB0_11:
	s_mov_b64 s[6:7], 0
                                        ; implicit-def: $vgpr4
                                        ; implicit-def: $vgpr5_vgpr6
	s_cbranch_execz .LBB0_17
.LBB0_12:
	v_add_u32_e32 v1, s1, v8
	v_cmp_gt_u32_e32 vcc, s0, v1
                                        ; implicit-def: $vgpr4
                                        ; implicit-def: $vgpr5_vgpr6
	s_and_saveexec_b64 s[10:11], vcc
	s_cbranch_execz .LBB0_16
; %bb.13:
	v_mad_u64_u32 v[4:5], s[14:15], s12, v8, 0
	v_mul_lo_u32 v1, v7, s2
	s_movk_i32 s1, 0x198
	v_mov_b32_e32 v2, v5
	v_mad_u64_u32 v[5:6], s[12:13], s13, v8, v[2:3]
	s_lshl_b64 s[8:9], s[8:9], 3
	v_mad_i32_i24 v3, v8, s1, 0
	s_add_u32 s1, s4, s8
	v_lshlrev_b64 v[4:5], 3, v[4:5]
	v_lshl_add_u32 v6, v7, 3, v3
	s_addc_u32 s3, s5, s9
	v_mov_b32_e32 v2, 0
	v_mov_b32_e32 v8, s3
	v_add_co_u32_e32 v7, vcc, s1, v4
	ds_read2_b64 v[9:12], v6 offset1:5
	v_addc_co_u32_e32 v8, vcc, v8, v5, vcc
	v_lshlrev_b64 v[4:5], 3, v[1:2]
	s_mul_i32 s4, s2, 5
	v_add_co_u32_e32 v4, vcc, v7, v4
	v_addc_co_u32_e32 v5, vcc, v8, v5, vcc
	v_add_u32_e32 v1, s4, v1
	s_waitcnt lgkmcnt(0)
	global_store_dwordx2 v[4:5], v[9:10], off
	v_lshlrev_b64 v[4:5], 3, v[1:2]
	v_add_u32_e32 v1, s4, v1
	v_add_co_u32_e32 v4, vcc, v7, v4
	v_addc_co_u32_e32 v5, vcc, v8, v5, vcc
	global_store_dwordx2 v[4:5], v[11:12], off
	ds_read2_b64 v[9:12], v6 offset0:10 offset1:15
	v_lshlrev_b64 v[4:5], 3, v[1:2]
	v_add_u32_e32 v1, s4, v1
	v_add_co_u32_e32 v4, vcc, v7, v4
	v_addc_co_u32_e32 v5, vcc, v8, v5, vcc
	s_waitcnt lgkmcnt(0)
	global_store_dwordx2 v[4:5], v[9:10], off
	v_lshlrev_b64 v[4:5], 3, v[1:2]
	v_add_u32_e32 v1, s4, v1
	v_add_co_u32_e32 v4, vcc, v7, v4
	v_addc_co_u32_e32 v5, vcc, v8, v5, vcc
	global_store_dwordx2 v[4:5], v[11:12], off
	ds_read2_b64 v[9:12], v6 offset0:20 offset1:25
	v_lshlrev_b64 v[4:5], 3, v[1:2]
	v_add_u32_e32 v1, s4, v1
	v_add_co_u32_e32 v4, vcc, v7, v4
	v_addc_co_u32_e32 v5, vcc, v8, v5, vcc
	;; [unrolled: 12-line block ×4, first 2 shown]
	s_waitcnt lgkmcnt(0)
	global_store_dwordx2 v[4:5], v[9:10], off
	v_lshlrev_b64 v[4:5], 3, v[1:2]
	s_mul_hi_u32 s1, s0, 0xcccccccd
	s_lshr_b32 s1, s1, 3
	v_add_co_u32_e32 v4, vcc, v7, v4
	s_mul_i32 s1, s1, 10
	v_addc_co_u32_e32 v5, vcc, v8, v5, vcc
	s_sub_i32 s0, s0, s1
	v_cmp_gt_u32_e32 vcc, s0, v0
	s_mov_b64 s[2:3], s[6:7]
	global_store_dwordx2 v[4:5], v[11:12], off
                                        ; implicit-def: $vgpr4
                                        ; implicit-def: $vgpr5_vgpr6
	s_and_saveexec_b64 s[0:1], vcc
	s_cbranch_execz .LBB0_15
; %bb.14:
	v_add_u32_e32 v1, s4, v1
	ds_read_b64 v[3:4], v3 offset:400
	v_lshlrev_b64 v[0:1], 3, v[1:2]
	s_or_b64 s[2:3], s[6:7], exec
	v_add_co_u32_e32 v5, vcc, v7, v0
	v_addc_co_u32_e32 v6, vcc, v8, v1, vcc
	s_waitcnt lgkmcnt(0)
	global_store_dword v[5:6], v3, off
.LBB0_15:
	s_or_b64 exec, exec, s[0:1]
	s_andn2_b64 s[0:1], s[6:7], exec
	s_and_b64 s[2:3], s[2:3], exec
	s_or_b64 s[6:7], s[0:1], s[2:3]
.LBB0_16:
	s_or_b64 exec, exec, s[10:11]
.LBB0_17:
	s_and_saveexec_b64 s[0:1], s[6:7]
	s_cbranch_execnz .LBB0_19
; %bb.18:
	s_endpgm
.LBB0_19:
	global_store_dword v[5:6], v4, off offset:4
	s_endpgm
	.section	.rodata,"a",@progbits
	.p2align	6, 0x0
	.amdhsa_kernel fft_rtc_fwd_len50_factors_10_5_wgs_50_tpt_5_sp_op_CI_CI_sbrc_erc_z_xy_unaligned
		.amdhsa_group_segment_fixed_size 0
		.amdhsa_private_segment_fixed_size 0
		.amdhsa_kernarg_size 104
		.amdhsa_user_sgpr_count 6
		.amdhsa_user_sgpr_private_segment_buffer 1
		.amdhsa_user_sgpr_dispatch_ptr 0
		.amdhsa_user_sgpr_queue_ptr 0
		.amdhsa_user_sgpr_kernarg_segment_ptr 1
		.amdhsa_user_sgpr_dispatch_id 0
		.amdhsa_user_sgpr_flat_scratch_init 0
		.amdhsa_user_sgpr_private_segment_size 0
		.amdhsa_uses_dynamic_stack 0
		.amdhsa_system_sgpr_private_segment_wavefront_offset 0
		.amdhsa_system_sgpr_workgroup_id_x 1
		.amdhsa_system_sgpr_workgroup_id_y 0
		.amdhsa_system_sgpr_workgroup_id_z 0
		.amdhsa_system_sgpr_workgroup_info 0
		.amdhsa_system_vgpr_workitem_id 0
		.amdhsa_next_free_vgpr 47
		.amdhsa_next_free_sgpr 30
		.amdhsa_reserve_vcc 1
		.amdhsa_reserve_flat_scratch 0
		.amdhsa_float_round_mode_32 0
		.amdhsa_float_round_mode_16_64 0
		.amdhsa_float_denorm_mode_32 3
		.amdhsa_float_denorm_mode_16_64 3
		.amdhsa_dx10_clamp 1
		.amdhsa_ieee_mode 1
		.amdhsa_fp16_overflow 0
		.amdhsa_exception_fp_ieee_invalid_op 0
		.amdhsa_exception_fp_denorm_src 0
		.amdhsa_exception_fp_ieee_div_zero 0
		.amdhsa_exception_fp_ieee_overflow 0
		.amdhsa_exception_fp_ieee_underflow 0
		.amdhsa_exception_fp_ieee_inexact 0
		.amdhsa_exception_int_div_zero 0
	.end_amdhsa_kernel
	.text
.Lfunc_end0:
	.size	fft_rtc_fwd_len50_factors_10_5_wgs_50_tpt_5_sp_op_CI_CI_sbrc_erc_z_xy_unaligned, .Lfunc_end0-fft_rtc_fwd_len50_factors_10_5_wgs_50_tpt_5_sp_op_CI_CI_sbrc_erc_z_xy_unaligned
                                        ; -- End function
	.section	.AMDGPU.csdata,"",@progbits
; Kernel info:
; codeLenInByte = 4476
; NumSgprs: 34
; NumVgprs: 47
; ScratchSize: 0
; MemoryBound: 0
; FloatMode: 240
; IeeeMode: 1
; LDSByteSize: 0 bytes/workgroup (compile time only)
; SGPRBlocks: 4
; VGPRBlocks: 11
; NumSGPRsForWavesPerEU: 34
; NumVGPRsForWavesPerEU: 47
; Occupancy: 5
; WaveLimiterHint : 1
; COMPUTE_PGM_RSRC2:SCRATCH_EN: 0
; COMPUTE_PGM_RSRC2:USER_SGPR: 6
; COMPUTE_PGM_RSRC2:TRAP_HANDLER: 0
; COMPUTE_PGM_RSRC2:TGID_X_EN: 1
; COMPUTE_PGM_RSRC2:TGID_Y_EN: 0
; COMPUTE_PGM_RSRC2:TGID_Z_EN: 0
; COMPUTE_PGM_RSRC2:TIDIG_COMP_CNT: 0
	.type	__hip_cuid_4da1bdda31dbb3d6,@object ; @__hip_cuid_4da1bdda31dbb3d6
	.section	.bss,"aw",@nobits
	.globl	__hip_cuid_4da1bdda31dbb3d6
__hip_cuid_4da1bdda31dbb3d6:
	.byte	0                               ; 0x0
	.size	__hip_cuid_4da1bdda31dbb3d6, 1

	.ident	"AMD clang version 19.0.0git (https://github.com/RadeonOpenCompute/llvm-project roc-6.4.0 25133 c7fe45cf4b819c5991fe208aaa96edf142730f1d)"
	.section	".note.GNU-stack","",@progbits
	.addrsig
	.addrsig_sym __hip_cuid_4da1bdda31dbb3d6
	.amdgpu_metadata
---
amdhsa.kernels:
  - .args:
      - .actual_access:  read_only
        .address_space:  global
        .offset:         0
        .size:           8
        .value_kind:     global_buffer
      - .offset:         8
        .size:           8
        .value_kind:     by_value
      - .actual_access:  read_only
        .address_space:  global
        .offset:         16
        .size:           8
        .value_kind:     global_buffer
      - .actual_access:  read_only
        .address_space:  global
        .offset:         24
        .size:           8
        .value_kind:     global_buffer
      - .actual_access:  read_only
        .address_space:  global
        .offset:         32
        .size:           8
        .value_kind:     global_buffer
      - .offset:         40
        .size:           8
        .value_kind:     by_value
      - .actual_access:  read_only
        .address_space:  global
        .offset:         48
        .size:           8
        .value_kind:     global_buffer
      - .actual_access:  read_only
        .address_space:  global
        .offset:         56
        .size:           8
        .value_kind:     global_buffer
      - .offset:         64
        .size:           4
        .value_kind:     by_value
      - .actual_access:  read_only
        .address_space:  global
        .offset:         72
        .size:           8
        .value_kind:     global_buffer
      - .actual_access:  read_only
        .address_space:  global
        .offset:         80
        .size:           8
        .value_kind:     global_buffer
      - .actual_access:  read_only
        .address_space:  global
        .offset:         88
        .size:           8
        .value_kind:     global_buffer
      - .actual_access:  write_only
        .address_space:  global
        .offset:         96
        .size:           8
        .value_kind:     global_buffer
    .group_segment_fixed_size: 0
    .kernarg_segment_align: 8
    .kernarg_segment_size: 104
    .language:       OpenCL C
    .language_version:
      - 2
      - 0
    .max_flat_workgroup_size: 50
    .name:           fft_rtc_fwd_len50_factors_10_5_wgs_50_tpt_5_sp_op_CI_CI_sbrc_erc_z_xy_unaligned
    .private_segment_fixed_size: 0
    .sgpr_count:     34
    .sgpr_spill_count: 0
    .symbol:         fft_rtc_fwd_len50_factors_10_5_wgs_50_tpt_5_sp_op_CI_CI_sbrc_erc_z_xy_unaligned.kd
    .uniform_work_group_size: 1
    .uses_dynamic_stack: false
    .vgpr_count:     47
    .vgpr_spill_count: 0
    .wavefront_size: 64
amdhsa.target:   amdgcn-amd-amdhsa--gfx906
amdhsa.version:
  - 1
  - 2
...

	.end_amdgpu_metadata
